;; amdgpu-corpus repo=ROCm/rocFFT kind=compiled arch=gfx1030 opt=O3
	.text
	.amdgcn_target "amdgcn-amd-amdhsa--gfx1030"
	.amdhsa_code_object_version 6
	.protected	bluestein_single_back_len90_dim1_dp_op_CI_CI ; -- Begin function bluestein_single_back_len90_dim1_dp_op_CI_CI
	.globl	bluestein_single_back_len90_dim1_dp_op_CI_CI
	.p2align	8
	.type	bluestein_single_back_len90_dim1_dp_op_CI_CI,@function
bluestein_single_back_len90_dim1_dp_op_CI_CI: ; @bluestein_single_back_len90_dim1_dp_op_CI_CI
; %bb.0:
	s_load_dwordx4 s[12:15], s[4:5], 0x28
	v_mul_u32_u24_e32 v1, 0x1c72, v0
	v_lshrrev_b32_e32 v1, 16, v1
	v_mad_u64_u32 v[152:153], null, s6, 7, v[1:2]
	v_mov_b32_e32 v153, 0
                                        ; kill: def $vgpr2 killed $sgpr0 killed $exec
	s_mov_b32 s0, exec_lo
	s_waitcnt lgkmcnt(0)
	v_cmpx_gt_u64_e64 s[12:13], v[152:153]
	s_cbranch_execz .LBB0_23
; %bb.1:
	s_clause 0x1
	s_load_dwordx4 s[0:3], s[4:5], 0x18
	s_load_dwordx2 s[12:13], s[4:5], 0x0
	v_mul_lo_u16 v1, v1, 9
	v_mul_hi_u32 v74, 0x24924925, v152
	v_sub_nc_u16 v110, v0, v1
	v_sub_nc_u32_e32 v75, v152, v74
	v_and_b32_e32 v155, 0xffff, v110
	v_lshrrev_b32_e32 v75, 1, v75
	v_or_b32_e32 v156, 48, v155
	v_lshlrev_b32_e32 v111, 4, v155
	s_waitcnt lgkmcnt(0)
	s_load_dwordx4 s[8:11], s[0:1], 0x0
	v_add_nc_u32_e32 v74, v75, v74
	s_clause 0x1
	global_load_dwordx4 v[24:27], v111, s[12:13]
	global_load_dwordx4 v[28:31], v111, s[12:13] offset:480
	v_lshrrev_b32_e32 v74, 2, v74
	v_mul_lo_u32 v74, v74, 7
	v_sub_nc_u32_e32 v112, v152, v74
	s_waitcnt lgkmcnt(0)
	v_mad_u64_u32 v[0:1], null, s10, v152, 0
	v_mad_u64_u32 v[2:3], null, s8, v155, 0
	s_mul_i32 s1, s9, 30
	s_mul_hi_u32 s7, s8, 30
	s_mul_i32 s0, s8, 30
	s_add_i32 s1, s7, s1
	s_mul_i32 s10, s9, 0xffffffcd
	s_mul_i32 s6, s8, 0xffffffcd
	v_mad_u64_u32 v[4:5], null, s11, v152, v[1:2]
	s_mul_hi_u32 s11, s8, 0xffffffcd
	v_mul_u32_u24_e32 v112, 0x5a, v112
	s_sub_i32 s7, s11, s8
	s_add_i32 s7, s7, s10
	v_mad_u64_u32 v[5:6], null, s9, v155, v[3:4]
	v_mov_b32_e32 v1, v4
	v_lshlrev_b32_e32 v158, 4, v112
	v_lshlrev_b64 v[0:1], 4, v[0:1]
	v_mov_b32_e32 v3, v5
	v_mad_u64_u32 v[4:5], null, s8, v156, 0
	v_add_nc_u32_e32 v157, v111, v158
	v_lshlrev_b64 v[2:3], 4, v[2:3]
	v_add_co_u32 v16, vcc_lo, s14, v0
	v_add_co_ci_u32_e32 v17, vcc_lo, s15, v1, vcc_lo
	s_lshl_b64 s[14:15], s[0:1], 4
	v_add_co_u32 v6, vcc_lo, v16, v2
	v_add_co_ci_u32_e32 v7, vcc_lo, v17, v3, vcc_lo
	s_lshl_b64 s[0:1], s[6:7], 4
	v_add_co_u32 v8, vcc_lo, v6, s14
	v_add_co_ci_u32_e32 v9, vcc_lo, s15, v7, vcc_lo
	v_mov_b32_e32 v0, v5
	v_add_co_u32 v10, vcc_lo, v8, s14
	v_add_co_ci_u32_e32 v11, vcc_lo, s15, v9, vcc_lo
	v_mad_u64_u32 v[0:1], null, s9, v156, v[0:1]
	v_add_co_u32 v12, vcc_lo, v10, s0
	v_add_co_ci_u32_e32 v13, vcc_lo, s1, v11, vcc_lo
	v_add_co_u32 v14, vcc_lo, v12, s14
	v_add_co_ci_u32_e32 v15, vcc_lo, s15, v13, vcc_lo
	v_mov_b32_e32 v5, v0
	v_add_co_u32 v62, vcc_lo, v14, s14
	v_add_co_ci_u32_e32 v63, vcc_lo, s15, v15, vcc_lo
	v_lshlrev_b64 v[0:1], 4, v[4:5]
	v_add_co_u32 v66, vcc_lo, v62, s0
	v_add_co_ci_u32_e32 v67, vcc_lo, s1, v63, vcc_lo
	v_add_co_u32 v4, vcc_lo, v16, v0
	v_mad_u64_u32 v[36:37], null, 0x3c0, s8, v[66:67]
	v_add_co_ci_u32_e32 v5, vcc_lo, v17, v1, vcc_lo
	global_load_dwordx4 v[0:3], v111, s[12:13] offset:768
	s_clause 0x1
	global_load_dwordx4 v[38:41], v[6:7], off
	global_load_dwordx4 v[42:45], v[4:5], off
	v_cmp_gt_u16_e32 vcc_lo, 3, v110
	v_mov_b32_e32 v16, v37
	v_mad_u64_u32 v[4:5], null, 0x3c0, s9, v[16:17]
	global_load_dwordx4 v[46:49], v[8:9], off
	global_load_dwordx4 v[32:35], v111, s[12:13] offset:960
	global_load_dwordx4 v[50:53], v[10:11], off
	global_load_dwordx4 v[20:23], v111, s[12:13] offset:144
	;; [unrolled: 2-line block ×4, first 2 shown]
	v_mov_b32_e32 v37, v4
	global_load_dwordx4 v[62:65], v[62:63], off
	global_load_dwordx4 v[8:11], v111, s[12:13] offset:288
	global_load_dwordx4 v[66:69], v[66:67], off
	global_load_dwordx4 v[4:7], v111, s[12:13] offset:1248
	global_load_dwordx4 v[70:73], v[36:37], off
	s_load_dwordx2 s[6:7], s[4:5], 0x38
	s_load_dwordx4 s[8:11], s[2:3], 0x0
	v_add_co_u32 v153, s2, s12, v111
	v_add_co_ci_u32_e64 v154, null, s13, 0, s2
	s_waitcnt vmcnt(14)
	v_mul_f64 v[74:75], v[40:41], v[26:27]
	v_mul_f64 v[76:77], v[38:39], v[26:27]
	s_waitcnt vmcnt(13)
	v_mul_f64 v[78:79], v[44:45], v[2:3]
	v_mul_f64 v[96:97], v[42:43], v[2:3]
	;; [unrolled: 3-line block ×9, first 2 shown]
	v_fma_f64 v[38:39], v[38:39], v[24:25], v[74:75]
	v_fma_f64 v[40:41], v[40:41], v[24:25], -v[76:77]
	v_fma_f64 v[42:43], v[42:43], v[0:1], v[78:79]
	v_fma_f64 v[44:45], v[44:45], v[0:1], -v[96:97]
	;; [unrolled: 2-line block ×6, first 2 shown]
	ds_write_b128 v157, v[38:41]
	ds_write_b128 v157, v[46:49] offset:480
	ds_write_b128 v157, v[50:53] offset:960
	;; [unrolled: 1-line block ×4, first 2 shown]
	v_fma_f64 v[62:63], v[62:63], v[12:13], v[98:99]
	v_fma_f64 v[64:65], v[64:65], v[12:13], -v[100:101]
	v_fma_f64 v[66:67], v[66:67], v[8:9], v[102:103]
	v_fma_f64 v[68:69], v[68:69], v[8:9], -v[104:105]
	;; [unrolled: 2-line block ×3, first 2 shown]
	ds_write_b128 v157, v[62:65] offset:1104
	ds_write_b128 v157, v[66:69] offset:288
	;; [unrolled: 1-line block ×4, first 2 shown]
	s_and_saveexec_b32 s2, vcc_lo
	s_cbranch_execz .LBB0_3
; %bb.2:
	v_add_co_u32 v36, s0, v36, s0
	v_add_co_ci_u32_e64 v37, s0, s1, v37, s0
	v_add_co_u32 v44, s0, v36, s14
	v_add_co_ci_u32_e64 v45, s0, s15, v37, s0
	global_load_dwordx4 v[36:39], v[36:37], off
	v_add_co_u32 v56, s0, v44, s14
	v_add_co_ci_u32_e64 v57, s0, s15, v45, s0
	global_load_dwordx4 v[40:43], v[153:154], off offset:432
	global_load_dwordx4 v[44:47], v[44:45], off
	s_clause 0x1
	global_load_dwordx4 v[48:51], v[153:154], off offset:912
	global_load_dwordx4 v[52:55], v[153:154], off offset:1392
	global_load_dwordx4 v[56:59], v[56:57], off
	s_waitcnt vmcnt(4)
	v_mul_f64 v[60:61], v[38:39], v[42:43]
	v_mul_f64 v[42:43], v[36:37], v[42:43]
	s_waitcnt vmcnt(2)
	v_mul_f64 v[62:63], v[46:47], v[50:51]
	v_mul_f64 v[50:51], v[44:45], v[50:51]
	;; [unrolled: 3-line block ×3, first 2 shown]
	v_fma_f64 v[36:37], v[36:37], v[40:41], v[60:61]
	v_fma_f64 v[38:39], v[38:39], v[40:41], -v[42:43]
	v_fma_f64 v[40:41], v[44:45], v[48:49], v[62:63]
	v_fma_f64 v[42:43], v[46:47], v[48:49], -v[50:51]
	;; [unrolled: 2-line block ×3, first 2 shown]
	ds_write_b128 v157, v[36:39] offset:432
	ds_write_b128 v157, v[40:43] offset:912
	;; [unrolled: 1-line block ×3, first 2 shown]
.LBB0_3:
	s_or_b32 exec_lo, exec_lo, s2
	s_waitcnt lgkmcnt(0)
	s_barrier
	buffer_gl0_inv
	ds_read_b128 v[64:67], v157
	ds_read_b128 v[60:63], v157 offset:144
	ds_read_b128 v[44:47], v157 offset:960
	;; [unrolled: 1-line block ×8, first 2 shown]
                                        ; implicit-def: $vgpr56_vgpr57
                                        ; implicit-def: $vgpr76_vgpr77
                                        ; implicit-def: $vgpr48_vgpr49
	s_and_saveexec_b32 s0, vcc_lo
	s_cbranch_execz .LBB0_5
; %bb.4:
	ds_read_b128 v[56:59], v157 offset:432
	ds_read_b128 v[76:79], v157 offset:912
	;; [unrolled: 1-line block ×3, first 2 shown]
.LBB0_5:
	s_or_b32 exec_lo, exec_lo, s0
	s_waitcnt lgkmcnt(4)
	v_add_f64 v[84:85], v[80:81], v[44:45]
	v_add_co_u32 v116, s2, v155, 9
	v_add_co_ci_u32_e64 v88, null, 0, 0, s2
	v_add_co_u32 v117, s2, v155, 18
	v_add_co_ci_u32_e64 v92, null, 0, 0, s2
	v_add_f64 v[86:87], v[82:83], v[46:47]
	s_waitcnt lgkmcnt(2)
	v_add_f64 v[88:89], v[72:73], v[40:41]
	v_add_f64 v[90:91], v[74:75], v[42:43]
	;; [unrolled: 1-line block ×3, first 2 shown]
	s_waitcnt lgkmcnt(0)
	v_add_f64 v[94:95], v[68:69], v[36:37]
	v_add_f64 v[100:101], v[76:77], v[48:49]
	v_add_f64 v[98:99], v[70:71], v[38:39]
	v_add_f64 v[96:97], v[82:83], -v[46:47]
	v_add_f64 v[82:83], v[66:67], v[82:83]
	v_add_f64 v[80:81], v[80:81], -v[44:45]
	v_add_f64 v[102:103], v[60:61], v[72:73]
	;; [unrolled: 2-line block ×3, first 2 shown]
	v_fma_f64 v[64:65], v[84:85], -0.5, v[64:65]
	v_add_f64 v[84:85], v[78:79], v[50:51]
	v_add_f64 v[72:73], v[72:73], -v[40:41]
	v_add_f64 v[112:113], v[56:57], v[76:77]
	v_add_f64 v[114:115], v[78:79], -v[50:51]
	;; [unrolled: 2-line block ×4, first 2 shown]
	v_fma_f64 v[66:67], v[86:87], -0.5, v[66:67]
	v_fma_f64 v[86:87], v[88:89], -0.5, v[60:61]
	v_add_f64 v[88:89], v[52:53], v[68:69]
	v_fma_f64 v[90:91], v[90:91], -0.5, v[62:63]
	v_fma_f64 v[94:95], v[94:95], -0.5, v[52:53]
	;; [unrolled: 1-line block ×3, first 2 shown]
	v_add_f64 v[52:53], v[92:93], v[44:45]
	v_add_f64 v[110:111], v[68:69], -v[36:37]
	v_fma_f64 v[98:99], v[98:99], -0.5, v[54:55]
	s_mov_b32 s2, 0xe8584caa
	s_load_dwordx2 s[0:1], s[4:5], 0x8
	s_mov_b32 s3, 0x3febb67a
	s_mov_b32 s5, 0xbfebb67a
	;; [unrolled: 1-line block ×3, first 2 shown]
	v_fma_f64 v[92:93], v[84:85], -0.5, v[58:59]
	v_fma_f64 v[56:57], v[96:97], s[2:3], v[64:65]
	v_fma_f64 v[60:61], v[96:97], s[4:5], v[64:65]
	v_add_f64 v[54:55], v[82:83], v[46:47]
	v_add_f64 v[40:41], v[102:103], v[40:41]
	;; [unrolled: 1-line block ×5, first 2 shown]
	v_fma_f64 v[58:59], v[80:81], s[4:5], v[66:67]
	v_fma_f64 v[62:63], v[80:81], s[2:3], v[66:67]
	;; [unrolled: 1-line block ×6, first 2 shown]
	v_add_f64 v[72:73], v[88:89], v[36:37]
	v_fma_f64 v[84:85], v[114:115], s[2:3], v[100:101]
	v_fma_f64 v[88:89], v[114:115], s[4:5], v[100:101]
	v_add_f64 v[74:75], v[108:109], v[38:39]
	v_fma_f64 v[76:77], v[106:107], s[2:3], v[94:95]
	v_fma_f64 v[78:79], v[110:111], s[4:5], v[98:99]
	v_mul_lo_u16 v36, v155, 3
	v_fma_f64 v[80:81], v[106:107], s[4:5], v[94:95]
	v_fma_f64 v[86:87], v[120:121], s[4:5], v[92:93]
	;; [unrolled: 1-line block ×4, first 2 shown]
	v_and_b32_e32 v37, 0xffff, v36
	v_add_co_u32 v36, null, v155, 27
	v_mul_u32_u24_e32 v38, 3, v116
	s_waitcnt lgkmcnt(0)
	v_lshl_add_u32 v160, v37, 4, v158
	v_mul_u32_u24_e32 v37, 3, v117
	v_mul_u32_u24_e32 v162, 3, v36
	v_lshl_add_u32 v161, v38, 4, v158
	s_barrier
	buffer_gl0_inv
	v_lshl_add_u32 v159, v37, 4, v158
	ds_write_b128 v160, v[52:55]
	ds_write_b128 v160, v[56:59] offset:16
	ds_write_b128 v160, v[60:63] offset:32
	ds_write_b128 v161, v[40:43]
	ds_write_b128 v161, v[64:67] offset:16
	ds_write_b128 v161, v[68:71] offset:32
	;; [unrolled: 3-line block ×3, first 2 shown]
	s_and_saveexec_b32 s2, vcc_lo
	s_cbranch_execz .LBB0_7
; %bb.6:
	v_lshl_add_u32 v37, v162, 4, v158
	ds_write_b128 v37, v[44:47]
	ds_write_b128 v37, v[84:87] offset:16
	ds_write_b128 v37, v[88:91] offset:32
.LBB0_7:
	s_or_b32 exec_lo, exec_lo, s2
	s_waitcnt lgkmcnt(0)
	s_barrier
	buffer_gl0_inv
	ds_read_b128 v[76:79], v157
	ds_read_b128 v[56:59], v157 offset:144
	ds_read_b128 v[96:99], v157 offset:960
	;; [unrolled: 1-line block ×8, first 2 shown]
	s_and_saveexec_b32 s2, vcc_lo
	s_cbranch_execz .LBB0_9
; %bb.8:
	ds_read_b128 v[44:47], v157 offset:432
	ds_read_b128 v[84:87], v157 offset:912
	;; [unrolled: 1-line block ×3, first 2 shown]
.LBB0_9:
	s_or_b32 exec_lo, exec_lo, s2
	v_and_b32_e32 v37, 0xff, v155
	v_and_b32_e32 v38, 0xff, v116
	;; [unrolled: 1-line block ×4, first 2 shown]
	s_mov_b32 s2, 0xe8584caa
	v_mul_lo_u16 v37, 0xab, v37
	v_mul_lo_u16 v38, 0xab, v38
	;; [unrolled: 1-line block ×3, first 2 shown]
	s_mov_b32 s3, 0x3febb67a
	s_mov_b32 s4, s2
	v_lshrrev_b16 v148, 9, v37
	v_mul_lo_u16 v37, 0xab, v40
	v_lshrrev_b16 v150, 9, v38
	v_lshrrev_b16 v149, 9, v39
	v_mul_lo_u16 v38, v148, 3
	v_lshrrev_b16 v37, 9, v37
	v_mul_lo_u16 v39, v150, 3
	v_mul_lo_u16 v40, v149, 3
	v_sub_nc_u16 v151, v155, v38
	v_mul_lo_u16 v37, v37, 3
	v_sub_nc_u16 v163, v116, v39
	v_mov_b32_e32 v38, 5
	v_sub_nc_u16 v164, v117, v40
	v_lshlrev_b16 v39, 1, v151
	v_sub_nc_u16 v165, v36, v37
	v_lshlrev_b16 v36, 1, v163
	v_mad_u16 v151, v148, 9, v151
	v_lshlrev_b32_sdwa v37, v38, v164 dst_sel:DWORD dst_unused:UNUSED_PAD src0_sel:DWORD src1_sel:BYTE_0
	v_and_b32_e32 v38, 0xfe, v39
	v_lshlrev_b16 v39, 1, v165
	v_and_b32_e32 v36, 0xfe, v36
	v_mad_u16 v150, v150, 9, v163
	s_clause 0x1
	global_load_dwordx4 v[48:51], v37, s[0:1]
	global_load_dwordx4 v[52:55], v37, s[0:1] offset:16
	v_and_b32_e32 v37, 0xfe, v39
	v_lshlrev_b32_e32 v38, 4, v38
	v_lshlrev_b32_e32 v36, 4, v36
	v_and_b32_e32 v163, 0xff, v165
	s_clause 0x1
	global_load_dwordx4 v[72:75], v38, s[0:1]
	global_load_dwordx4 v[68:71], v38, s[0:1] offset:16
	v_lshlrev_b32_e32 v37, 4, v37
	s_clause 0x3
	global_load_dwordx4 v[64:67], v36, s[0:1]
	global_load_dwordx4 v[60:63], v36, s[0:1] offset:16
	global_load_dwordx4 v[40:43], v37, s[0:1]
	global_load_dwordx4 v[36:39], v37, s[0:1] offset:16
	s_waitcnt vmcnt(0) lgkmcnt(0)
	s_barrier
	buffer_gl0_inv
	v_mul_f64 v[116:117], v[114:115], v[50:51]
	v_mul_f64 v[118:119], v[112:113], v[50:51]
	;; [unrolled: 1-line block ×16, first 2 shown]
	v_fma_f64 v[112:113], v[112:113], v[48:49], -v[116:117]
	v_fma_f64 v[114:115], v[114:115], v[48:49], v[118:119]
	v_fma_f64 v[110:111], v[110:111], v[52:53], v[122:123]
	v_fma_f64 v[108:109], v[108:109], v[52:53], -v[120:121]
	v_fma_f64 v[104:105], v[104:105], v[72:73], -v[124:125]
	;; [unrolled: 1-line block ×3, first 2 shown]
	v_fma_f64 v[106:107], v[106:107], v[72:73], v[128:129]
	v_fma_f64 v[98:99], v[98:99], v[68:69], v[130:131]
	v_fma_f64 v[116:117], v[92:93], v[60:61], -v[134:135]
	v_fma_f64 v[92:93], v[84:85], v[40:41], -v[140:141]
	;; [unrolled: 1-line block ×3, first 2 shown]
	v_fma_f64 v[88:89], v[86:87], v[40:41], v[144:145]
	v_fma_f64 v[86:87], v[90:91], v[36:37], v[146:147]
	v_fma_f64 v[100:101], v[100:101], v[64:65], -v[132:133]
	v_fma_f64 v[102:103], v[102:103], v[64:65], v[136:137]
	v_fma_f64 v[94:95], v[94:95], v[60:61], v[138:139]
	v_mov_b32_e32 v128, 9
	v_add_f64 v[132:133], v[80:81], v[112:113]
	v_add_f64 v[118:119], v[114:115], v[110:111]
	v_mul_u32_u24_sdwa v166, v149, v128 dst_sel:DWORD dst_unused:UNUSED_PAD src0_sel:WORD_0 src1_sel:DWORD
	v_add_f64 v[90:91], v[112:113], v[108:109]
	v_add_f64 v[134:135], v[114:115], -v[110:111]
	v_add_f64 v[114:115], v[82:83], v[114:115]
	v_add_f64 v[136:137], v[76:77], v[104:105]
	;; [unrolled: 1-line block ×5, first 2 shown]
	v_add_f64 v[112:113], v[112:113], -v[108:109]
	v_add_f64 v[106:107], v[106:107], -v[98:99]
	v_add_f64 v[128:129], v[92:93], v[84:85]
	v_add_f64 v[104:105], v[104:105], -v[96:97]
	v_add_f64 v[130:131], v[88:89], v[86:87]
	v_add_f64 v[124:125], v[100:101], v[116:117]
	;; [unrolled: 1-line block ×4, first 2 shown]
	v_add_f64 v[146:147], v[88:89], -v[86:87]
	v_add_f64 v[148:149], v[92:93], -v[84:85]
	v_add_f64 v[142:143], v[58:59], v[102:103]
	v_add_f64 v[102:103], v[102:103], -v[94:95]
	v_add_f64 v[144:145], v[100:101], -v[116:117]
	v_fma_f64 v[118:119], v[118:119], -0.5, v[82:83]
	v_fma_f64 v[90:91], v[90:91], -0.5, v[80:81]
	;; [unrolled: 1-line block ×3, first 2 shown]
	v_add_f64 v[76:77], v[136:137], v[96:97]
	v_fma_f64 v[122:123], v[122:123], -0.5, v[78:79]
	v_add_f64 v[78:79], v[138:139], v[98:99]
	v_fma_f64 v[128:129], v[128:129], -0.5, v[44:45]
	v_fma_f64 v[130:131], v[130:131], -0.5, v[46:47]
	;; [unrolled: 1-line block ×3, first 2 shown]
	v_add_f64 v[56:57], v[132:133], v[108:109]
	v_fma_f64 v[126:127], v[126:127], -0.5, v[58:59]
	v_add_f64 v[58:59], v[114:115], v[110:111]
	v_add_f64 v[80:81], v[140:141], v[116:117]
	;; [unrolled: 1-line block ×3, first 2 shown]
	v_fma_f64 v[96:97], v[112:113], s[4:5], v[118:119]
	v_fma_f64 v[100:101], v[112:113], s[2:3], v[118:119]
	;; [unrolled: 1-line block ×4, first 2 shown]
	v_add_nc_u32_sdwa v90, v166, v164 dst_sel:DWORD dst_unused:UNUSED_PAD src0_sel:DWORD src1_sel:BYTE_0
	v_and_b32_e32 v91, 0xff, v151
	v_fma_f64 v[112:113], v[106:107], s[2:3], v[120:121]
	v_fma_f64 v[116:117], v[106:107], s[4:5], v[120:121]
	;; [unrolled: 1-line block ×4, first 2 shown]
	v_lshl_add_u32 v164, v90, 4, v158
	v_fma_f64 v[108:109], v[146:147], s[2:3], v[128:129]
	v_fma_f64 v[104:105], v[146:147], s[4:5], v[128:129]
	v_fma_f64 v[110:111], v[148:149], s[4:5], v[130:131]
	v_fma_f64 v[106:107], v[148:149], s[2:3], v[130:131]
	v_fma_f64 v[120:121], v[102:103], s[2:3], v[124:125]
	v_fma_f64 v[122:123], v[144:145], s[4:5], v[126:127]
	v_fma_f64 v[124:125], v[102:103], s[4:5], v[124:125]
	v_fma_f64 v[126:127], v[144:145], s[2:3], v[126:127]
	v_and_b32_e32 v102, 0xff, v150
	v_lshl_add_u32 v166, v91, 4, v158
	v_lshl_add_u32 v165, v102, 4, v158
	ds_write_b128 v166, v[76:79]
	ds_write_b128 v166, v[112:115] offset:48
	ds_write_b128 v166, v[116:119] offset:96
	ds_write_b128 v165, v[80:83]
	ds_write_b128 v165, v[120:123] offset:48
	ds_write_b128 v165, v[124:127] offset:96
	;; [unrolled: 3-line block ×3, first 2 shown]
	s_and_saveexec_b32 s2, vcc_lo
	s_cbranch_execz .LBB0_11
; %bb.10:
	v_add_f64 v[46:47], v[46:47], v[88:89]
	v_add_f64 v[44:45], v[44:45], v[92:93]
	v_lshl_add_u32 v56, v163, 4, v158
	v_add_f64 v[46:47], v[46:47], v[86:87]
	v_add_f64 v[44:45], v[44:45], v[84:85]
	ds_write_b128 v56, v[108:111] offset:1344
	ds_write_b128 v56, v[44:47] offset:1296
	;; [unrolled: 1-line block ×3, first 2 shown]
.LBB0_11:
	s_or_b32 exec_lo, exec_lo, s2
	v_mad_u64_u32 v[88:89], null, 0x90, v155, s[0:1]
	s_waitcnt lgkmcnt(0)
	s_barrier
	buffer_gl0_inv
	s_mov_b32 s0, 0x134454ff
	s_mov_b32 s1, 0x3fee6f0e
	;; [unrolled: 1-line block ×3, first 2 shown]
	s_clause 0x8
	global_load_dwordx4 v[56:59], v[88:89], off offset:128
	global_load_dwordx4 v[80:83], v[88:89], off offset:160
	;; [unrolled: 1-line block ×9, first 2 shown]
	ds_read_b128 v[112:115], v157 offset:432
	ds_read_b128 v[116:119], v157 offset:720
	;; [unrolled: 1-line block ×9, first 2 shown]
	s_mov_b32 s14, s0
	s_mov_b32 s2, 0x4755a5e
	;; [unrolled: 1-line block ×9, first 2 shown]
	s_waitcnt vmcnt(8) lgkmcnt(8)
	v_mul_f64 v[148:149], v[114:115], v[58:59]
	s_waitcnt vmcnt(7) lgkmcnt(7)
	v_mul_f64 v[167:168], v[118:119], v[82:83]
	v_mul_f64 v[169:170], v[116:117], v[82:83]
	s_waitcnt vmcnt(6) lgkmcnt(6)
	v_mul_f64 v[171:172], v[122:123], v[78:79]
	v_mul_f64 v[173:174], v[120:121], v[78:79]
	;; [unrolled: 1-line block ×3, first 2 shown]
	s_waitcnt vmcnt(5) lgkmcnt(5)
	v_mul_f64 v[175:176], v[124:125], v[86:87]
	v_mul_f64 v[177:178], v[126:127], v[86:87]
	s_waitcnt vmcnt(4) lgkmcnt(4)
	v_mul_f64 v[179:180], v[130:131], v[46:47]
	v_mul_f64 v[181:182], v[128:129], v[46:47]
	;; [unrolled: 3-line block ×5, first 2 shown]
	s_waitcnt vmcnt(0) lgkmcnt(0)
	v_mul_f64 v[195:196], v[144:145], v[90:91]
	v_fma_f64 v[148:149], v[112:113], v[56:57], -v[148:149]
	v_fma_f64 v[116:117], v[116:117], v[80:81], -v[167:168]
	v_fma_f64 v[118:119], v[118:119], v[80:81], v[169:170]
	v_fma_f64 v[120:121], v[120:121], v[76:77], -v[171:172]
	v_fma_f64 v[122:123], v[122:123], v[76:77], v[173:174]
	v_fma_f64 v[150:151], v[114:115], v[56:57], v[150:151]
	;; [unrolled: 1-line block ×3, first 2 shown]
	v_fma_f64 v[124:125], v[124:125], v[84:85], -v[177:178]
	v_mul_f64 v[167:168], v[146:147], v[90:91]
	v_fma_f64 v[128:129], v[128:129], v[44:45], -v[179:180]
	v_fma_f64 v[130:131], v[130:131], v[44:45], v[181:182]
	v_fma_f64 v[132:133], v[132:133], v[100:101], -v[183:184]
	v_fma_f64 v[134:135], v[134:135], v[100:101], v[185:186]
	;; [unrolled: 2-line block ×4, first 2 shown]
	v_fma_f64 v[146:147], v[146:147], v[88:89], v[195:196]
	ds_read_b128 v[112:115], v157
	v_add_f64 v[209:210], v[148:149], -v[116:117]
	v_add_f64 v[213:214], v[116:117], -v[148:149]
	v_add_f64 v[169:170], v[116:117], v[120:121]
	v_add_f64 v[171:172], v[118:119], v[122:123]
	v_add_f64 v[185:186], v[118:119], -v[122:123]
	v_add_f64 v[173:174], v[150:151], v[126:127]
	v_add_f64 v[175:176], v[148:149], v[124:125]
	v_fma_f64 v[144:145], v[144:145], v[88:89], -v[167:168]
	v_add_f64 v[183:184], v[150:151], -v[126:127]
	v_add_f64 v[187:188], v[148:149], -v[124:125]
	;; [unrolled: 1-line block ×6, first 2 shown]
	v_add_f64 v[177:178], v[136:137], v[140:141]
	v_add_f64 v[203:204], v[138:139], v[142:143]
	;; [unrolled: 1-line block ×3, first 2 shown]
	v_add_f64 v[219:220], v[126:127], -v[122:123]
	v_add_f64 v[221:222], v[118:119], -v[150:151]
	;; [unrolled: 1-line block ×3, first 2 shown]
	s_waitcnt lgkmcnt(0)
	v_add_f64 v[167:168], v[112:113], v[132:133]
	v_add_f64 v[201:202], v[114:115], v[134:135]
	v_add_f64 v[179:180], v[134:135], -v[146:147]
	v_add_f64 v[181:182], v[138:139], -v[142:143]
	v_fma_f64 v[169:170], v[169:170], -0.5, v[128:129]
	v_fma_f64 v[171:172], v[171:172], -0.5, v[130:131]
	v_add_f64 v[191:192], v[132:133], -v[136:137]
	v_fma_f64 v[173:174], v[173:174], -0.5, v[130:131]
	v_fma_f64 v[175:176], v[175:176], -0.5, v[128:129]
	v_add_f64 v[195:196], v[132:133], v[144:145]
	v_add_f64 v[128:129], v[128:129], v[148:149]
	;; [unrolled: 1-line block ×3, first 2 shown]
	v_add_f64 v[197:198], v[136:137], -v[132:133]
	v_add_f64 v[199:200], v[140:141], -v[144:145]
	;; [unrolled: 1-line block ×4, first 2 shown]
	v_fma_f64 v[148:149], v[177:178], -0.5, v[112:113]
	v_fma_f64 v[150:151], v[203:204], -0.5, v[114:115]
	;; [unrolled: 1-line block ×3, first 2 shown]
	v_add_f64 v[177:178], v[209:210], v[211:212]
	v_add_f64 v[203:204], v[217:218], v[219:220]
	v_add_f64 v[193:194], v[144:145], -v[140:141]
	v_add_f64 v[207:208], v[221:222], v[223:224]
	v_add_f64 v[233:234], v[134:135], -v[138:139]
	v_add_f64 v[134:135], v[138:139], -v[134:135]
	v_add_f64 v[136:137], v[167:168], v[136:137]
	v_fma_f64 v[231:232], v[183:184], s[14:15], v[169:170]
	v_fma_f64 v[225:226], v[187:188], s[14:15], v[171:172]
	;; [unrolled: 1-line block ×8, first 2 shown]
	v_fma_f64 v[112:113], v[195:196], -0.5, v[112:113]
	v_add_f64 v[195:196], v[213:214], v[215:216]
	v_add_f64 v[138:139], v[201:202], v[138:139]
	;; [unrolled: 1-line block ×4, first 2 shown]
	v_add_f64 v[235:236], v[146:147], -v[142:143]
	v_add_f64 v[237:238], v[142:143], -v[146:147]
	v_fma_f64 v[128:129], v[179:180], s[0:1], v[148:149]
	v_fma_f64 v[130:131], v[179:180], s[14:15], v[148:149]
	v_add_f64 v[167:168], v[191:192], v[193:194]
	v_add_f64 v[136:137], v[136:137], v[140:141]
	v_fma_f64 v[215:216], v[185:186], s[16:17], v[231:232]
	v_fma_f64 v[209:210], v[189:190], s[16:17], v[225:226]
	;; [unrolled: 1-line block ×8, first 2 shown]
	v_add_f64 v[183:184], v[197:198], v[199:200]
	v_fma_f64 v[148:149], v[181:182], s[14:15], v[112:113]
	v_fma_f64 v[112:113], v[181:182], s[0:1], v[112:113]
	;; [unrolled: 1-line block ×6, first 2 shown]
	v_add_f64 v[138:139], v[138:139], v[142:143]
	v_add_f64 v[116:117], v[116:117], v[120:121]
	;; [unrolled: 1-line block ×4, first 2 shown]
	v_fma_f64 v[120:121], v[181:182], s[2:3], v[128:129]
	v_fma_f64 v[122:123], v[181:182], s[16:17], v[130:131]
	v_add_f64 v[136:137], v[136:137], v[144:145]
	v_fma_f64 v[197:198], v[177:178], s[4:5], v[215:216]
	v_fma_f64 v[189:190], v[203:204], s[4:5], v[209:210]
	;; [unrolled: 1-line block ×8, first 2 shown]
	v_add_f64 v[177:178], v[233:234], v[235:236]
	v_fma_f64 v[128:129], v[179:180], s[2:3], v[148:149]
	v_fma_f64 v[112:113], v[179:180], s[16:17], v[112:113]
	v_fma_f64 v[130:131], v[205:206], s[16:17], v[185:186]
	v_fma_f64 v[140:141], v[205:206], s[2:3], v[150:151]
	v_fma_f64 v[142:143], v[132:133], s[16:17], v[187:188]
	v_fma_f64 v[114:115], v[132:133], s[2:3], v[114:115]
	v_add_f64 v[138:139], v[138:139], v[146:147]
	v_add_f64 v[124:125], v[116:117], v[124:125]
	;; [unrolled: 1-line block ×3, first 2 shown]
	v_lshlrev_b32_e32 v116, 4, v155
	v_fma_f64 v[144:145], v[167:168], s[4:5], v[120:121]
	v_fma_f64 v[199:200], v[167:168], s[4:5], v[122:123]
	v_mul_f64 v[179:180], v[197:198], s[18:19]
	v_mul_f64 v[132:133], v[189:190], s[2:3]
	;; [unrolled: 1-line block ×8, first 2 shown]
	v_fma_f64 v[146:147], v[183:184], s[4:5], v[128:129]
	v_fma_f64 v[112:113], v[183:184], s[4:5], v[112:113]
	;; [unrolled: 1-line block ×6, first 2 shown]
	v_add_f64 v[117:118], v[136:137], v[124:125]
	v_add_f64 v[119:120], v[138:139], v[126:127]
	v_add_f64 v[121:122], v[136:137], -v[124:125]
	v_add_f64 v[123:124], v[138:139], -v[126:127]
	v_fma_f64 v[141:142], v[169:170], s[18:19], v[132:133]
	v_fma_f64 v[169:170], v[171:172], s[2:3], -v[179:180]
	v_fma_f64 v[171:172], v[189:190], s[18:19], v[181:182]
	v_fma_f64 v[148:149], v[175:176], s[4:5], v[148:149]
	v_fma_f64 v[150:151], v[173:174], s[0:1], -v[150:151]
	v_fma_f64 v[173:174], v[191:192], s[4:5], v[185:186]
	v_fma_f64 v[175:176], v[193:194], s[14:15], -v[187:188]
	v_fma_f64 v[179:180], v[197:198], s[16:17], -v[195:196]
	s_add_u32 s0, s12, 0x5a0
	s_addc_u32 s1, s13, 0
	v_add_f64 v[125:126], v[144:145], v[141:142]
	v_add_f64 v[137:138], v[199:200], v[169:170]
	v_add_f64 v[127:128], v[183:184], v[171:172]
	v_add_f64 v[129:130], v[146:147], v[148:149]
	v_add_f64 v[133:134], v[112:113], v[150:151]
	v_add_f64 v[131:132], v[201:202], v[173:174]
	v_add_f64 v[135:136], v[114:115], v[175:176]
	v_add_f64 v[139:140], v[177:178], v[179:180]
	v_add_f64 v[141:142], v[144:145], -v[141:142]
	v_add_f64 v[143:144], v[183:184], -v[171:172]
	;; [unrolled: 1-line block ×8, first 2 shown]
	ds_write_b128 v157, v[117:120]
	ds_write_b128 v157, v[121:124] offset:720
	ds_write_b128 v157, v[125:128] offset:144
	ds_write_b128 v157, v[129:132] offset:288
	ds_write_b128 v157, v[133:136] offset:432
	ds_write_b128 v157, v[137:140] offset:576
	ds_write_b128 v157, v[141:144] offset:864
	ds_write_b128 v157, v[145:148] offset:1008
	ds_write_b128 v157, v[167:170] offset:1152
	ds_write_b128 v157, v[112:115] offset:1296
	s_waitcnt lgkmcnt(0)
	s_barrier
	buffer_gl0_inv
	s_clause 0x8
	global_load_dwordx4 v[117:120], v[153:154], off offset:1440
	global_load_dwordx4 v[121:124], v116, s[0:1] offset:480
	global_load_dwordx4 v[125:128], v116, s[0:1] offset:960
	;; [unrolled: 1-line block ×8, first 2 shown]
	ds_read_b128 v[171:174], v157
	ds_read_b128 v[175:178], v157 offset:480
	ds_read_b128 v[179:182], v157 offset:960
	;; [unrolled: 1-line block ×8, first 2 shown]
	s_waitcnt vmcnt(8) lgkmcnt(8)
	v_mul_f64 v[149:150], v[173:174], v[119:120]
	v_mul_f64 v[119:120], v[171:172], v[119:120]
	s_waitcnt vmcnt(7) lgkmcnt(7)
	v_mul_f64 v[207:208], v[177:178], v[123:124]
	v_mul_f64 v[123:124], v[175:176], v[123:124]
	;; [unrolled: 3-line block ×9, first 2 shown]
	v_fma_f64 v[147:148], v[171:172], v[117:118], -v[149:150]
	v_fma_f64 v[149:150], v[173:174], v[117:118], v[119:120]
	v_fma_f64 v[117:118], v[175:176], v[121:122], -v[207:208]
	v_fma_f64 v[119:120], v[177:178], v[121:122], v[123:124]
	;; [unrolled: 2-line block ×9, first 2 shown]
	ds_write_b128 v157, v[147:150]
	ds_write_b128 v157, v[117:120] offset:480
	ds_write_b128 v157, v[121:124] offset:960
	;; [unrolled: 1-line block ×8, first 2 shown]
	s_and_saveexec_b32 s2, vcc_lo
	s_cbranch_execz .LBB0_13
; %bb.12:
	v_add_co_u32 v124, s0, s0, v116
	v_add_co_ci_u32_e64 v125, null, s1, 0, s0
	s_clause 0x2
	global_load_dwordx4 v[116:119], v[124:125], off offset:432
	global_load_dwordx4 v[120:123], v[124:125], off offset:912
	;; [unrolled: 1-line block ×3, first 2 shown]
	ds_read_b128 v[128:131], v157 offset:432
	ds_read_b128 v[132:135], v157 offset:912
	;; [unrolled: 1-line block ×3, first 2 shown]
	s_waitcnt vmcnt(2) lgkmcnt(2)
	v_mul_f64 v[140:141], v[130:131], v[118:119]
	v_mul_f64 v[118:119], v[128:129], v[118:119]
	s_waitcnt vmcnt(1) lgkmcnt(1)
	v_mul_f64 v[142:143], v[134:135], v[122:123]
	v_mul_f64 v[122:123], v[132:133], v[122:123]
	;; [unrolled: 3-line block ×3, first 2 shown]
	v_fma_f64 v[126:127], v[128:129], v[116:117], -v[140:141]
	v_fma_f64 v[128:129], v[130:131], v[116:117], v[118:119]
	v_fma_f64 v[116:117], v[132:133], v[120:121], -v[142:143]
	v_fma_f64 v[118:119], v[134:135], v[120:121], v[122:123]
	;; [unrolled: 2-line block ×3, first 2 shown]
	ds_write_b128 v157, v[126:129] offset:432
	ds_write_b128 v157, v[116:119] offset:912
	;; [unrolled: 1-line block ×3, first 2 shown]
.LBB0_13:
	s_or_b32 exec_lo, exec_lo, s2
	s_waitcnt lgkmcnt(0)
	s_barrier
	buffer_gl0_inv
	ds_read_b128 v[136:139], v157
	ds_read_b128 v[132:135], v157 offset:144
	ds_read_b128 v[124:127], v157 offset:960
	;; [unrolled: 1-line block ×8, first 2 shown]
	s_and_saveexec_b32 s0, vcc_lo
	s_cbranch_execz .LBB0_15
; %bb.14:
	ds_read_b128 v[112:115], v157 offset:432
	ds_read_b128 v[108:111], v157 offset:912
	;; [unrolled: 1-line block ×3, first 2 shown]
.LBB0_15:
	s_or_b32 exec_lo, exec_lo, s0
	s_waitcnt lgkmcnt(0)
	v_add_f64 v[183:184], v[108:109], v[104:105]
	v_add_f64 v[185:186], v[110:111], v[106:107]
	;; [unrolled: 1-line block ×9, first 2 shown]
	v_add_f64 v[179:180], v[150:151], -v[126:127]
	v_add_f64 v[150:151], v[138:139], v[150:151]
	v_add_f64 v[195:196], v[112:113], v[108:109]
	v_add_f64 v[197:198], v[110:111], -v[106:107]
	v_add_f64 v[110:111], v[114:115], v[110:111]
	v_add_f64 v[199:200], v[108:109], -v[104:105]
	v_add_f64 v[148:149], v[148:149], -v[124:125]
	v_add_f64 v[187:188], v[132:133], v[144:145]
	v_add_f64 v[189:190], v[146:147], -v[122:123]
	v_add_f64 v[146:147], v[134:135], v[146:147]
	;; [unrolled: 2-line block ×3, first 2 shown]
	v_add_f64 v[193:194], v[140:141], -v[116:117]
	v_fma_f64 v[112:113], v[183:184], -0.5, v[112:113]
	v_fma_f64 v[114:115], v[185:186], -0.5, v[114:115]
	v_fma_f64 v[136:137], v[167:168], -0.5, v[136:137]
	v_fma_f64 v[138:139], v[169:170], -0.5, v[138:139]
	v_fma_f64 v[167:168], v[171:172], -0.5, v[132:133]
	v_fma_f64 v[173:174], v[173:174], -0.5, v[134:135]
	v_add_f64 v[169:170], v[128:129], v[140:141]
	v_add_f64 v[171:172], v[142:143], -v[118:119]
	v_fma_f64 v[177:178], v[177:178], -0.5, v[128:129]
	v_fma_f64 v[181:182], v[181:182], -0.5, v[130:131]
	s_mov_b32 s0, 0xe8584caa
	s_mov_b32 s1, 0xbfebb67a
	s_mov_b32 s3, 0x3febb67a
	s_mov_b32 s2, s0
	v_add_f64 v[124:125], v[175:176], v[124:125]
	v_add_f64 v[126:127], v[150:151], v[126:127]
	;; [unrolled: 1-line block ×7, first 2 shown]
	v_fma_f64 v[108:109], v[197:198], s[0:1], v[112:113]
	v_fma_f64 v[112:113], v[197:198], s[2:3], v[112:113]
	;; [unrolled: 1-line block ×12, first 2 shown]
	v_add_f64 v[116:117], v[169:170], v[116:117]
	v_fma_f64 v[144:145], v[171:172], s[0:1], v[177:178]
	v_fma_f64 v[146:147], v[193:194], s[2:3], v[181:182]
	;; [unrolled: 1-line block ×4, first 2 shown]
	s_barrier
	buffer_gl0_inv
	ds_write_b128 v160, v[124:127]
	ds_write_b128 v160, v[128:131] offset:16
	ds_write_b128 v160, v[132:135] offset:32
	ds_write_b128 v161, v[120:123]
	ds_write_b128 v161, v[136:139] offset:16
	ds_write_b128 v161, v[140:143] offset:32
	;; [unrolled: 3-line block ×3, first 2 shown]
	s_and_saveexec_b32 s0, vcc_lo
	s_cbranch_execz .LBB0_17
; %bb.16:
	v_lshl_add_u32 v116, v162, 4, v158
	ds_write_b128 v116, v[104:107]
	ds_write_b128 v116, v[108:111] offset:16
	ds_write_b128 v116, v[112:115] offset:32
.LBB0_17:
	s_or_b32 exec_lo, exec_lo, s0
	s_waitcnt lgkmcnt(0)
	s_barrier
	buffer_gl0_inv
	ds_read_b128 v[124:127], v157
	ds_read_b128 v[116:119], v157 offset:144
	ds_read_b128 v[140:143], v157 offset:960
	;; [unrolled: 1-line block ×8, first 2 shown]
	s_and_saveexec_b32 s0, vcc_lo
	s_cbranch_execz .LBB0_19
; %bb.18:
	ds_read_b128 v[104:107], v157 offset:432
	ds_read_b128 v[108:111], v157 offset:912
	;; [unrolled: 1-line block ×3, first 2 shown]
.LBB0_19:
	s_or_b32 exec_lo, exec_lo, s0
	s_waitcnt lgkmcnt(4)
	v_mul_f64 v[159:160], v[74:75], v[150:151]
	v_mul_f64 v[161:162], v[70:71], v[142:143]
	;; [unrolled: 1-line block ×4, first 2 shown]
	s_waitcnt lgkmcnt(2)
	v_mul_f64 v[167:168], v[66:67], v[146:147]
	v_mul_f64 v[169:170], v[62:63], v[130:131]
	;; [unrolled: 1-line block ×4, first 2 shown]
	s_waitcnt lgkmcnt(1)
	v_mul_f64 v[171:172], v[50:51], v[134:135]
	s_waitcnt lgkmcnt(0)
	v_mul_f64 v[173:174], v[54:55], v[138:139]
	v_mul_f64 v[50:51], v[50:51], v[132:133]
	;; [unrolled: 1-line block ×3, first 2 shown]
	s_mov_b32 s0, 0xe8584caa
	s_mov_b32 s1, 0xbfebb67a
	;; [unrolled: 1-line block ×3, first 2 shown]
	s_barrier
	buffer_gl0_inv
	v_fma_f64 v[148:149], v[72:73], v[148:149], v[159:160]
	v_fma_f64 v[140:141], v[68:69], v[140:141], v[161:162]
	v_fma_f64 v[72:73], v[72:73], v[150:151], -v[74:75]
	v_fma_f64 v[68:69], v[68:69], v[142:143], -v[70:71]
	v_fma_f64 v[70:71], v[64:65], v[144:145], v[167:168]
	v_fma_f64 v[74:75], v[60:61], v[128:129], v[169:170]
	v_fma_f64 v[64:65], v[64:65], v[146:147], -v[66:67]
	v_fma_f64 v[60:61], v[60:61], v[130:131], -v[62:63]
	;; [unrolled: 4-line block ×3, first 2 shown]
	v_add_f64 v[136:137], v[124:125], v[148:149]
	v_add_f64 v[50:51], v[148:149], v[140:141]
	v_add_f64 v[148:149], v[148:149], -v[140:141]
	v_add_f64 v[52:53], v[72:73], v[68:69]
	v_add_f64 v[138:139], v[72:73], -v[68:69]
	v_add_f64 v[54:55], v[70:71], v[74:75]
	v_add_f64 v[72:73], v[126:127], v[72:73]
	;; [unrolled: 1-line block ×8, first 2 shown]
	v_add_f64 v[159:160], v[64:65], -v[60:61]
	v_add_f64 v[161:162], v[70:71], -v[74:75]
	v_add_f64 v[150:151], v[122:123], v[48:49]
	v_add_f64 v[167:168], v[62:63], -v[66:67]
	v_fma_f64 v[124:125], v[50:51], -0.5, v[124:125]
	v_fma_f64 v[126:127], v[52:53], -0.5, v[126:127]
	;; [unrolled: 1-line block ×3, first 2 shown]
	v_add_f64 v[50:51], v[72:73], v[68:69]
	v_fma_f64 v[118:119], v[130:131], -0.5, v[118:119]
	v_add_f64 v[130:131], v[48:49], -v[128:129]
	v_fma_f64 v[132:133], v[132:133], -0.5, v[120:121]
	v_add_f64 v[48:49], v[136:137], v[140:141]
	v_fma_f64 v[134:135], v[134:135], -0.5, v[122:123]
	v_add_f64 v[54:55], v[144:145], v[60:61]
	v_add_f64 v[60:61], v[146:147], v[66:67]
	;; [unrolled: 1-line block ×4, first 2 shown]
	v_fma_f64 v[64:65], v[138:139], s[0:1], v[124:125]
	v_fma_f64 v[68:69], v[138:139], s[2:3], v[124:125]
	;; [unrolled: 1-line block ×12, first 2 shown]
	ds_write_b128 v166, v[48:51]
	ds_write_b128 v166, v[64:67] offset:48
	ds_write_b128 v166, v[68:71] offset:96
	ds_write_b128 v165, v[52:55]
	ds_write_b128 v165, v[72:75] offset:48
	ds_write_b128 v165, v[116:119] offset:96
	;; [unrolled: 3-line block ×3, first 2 shown]
	s_and_saveexec_b32 s4, vcc_lo
	s_cbranch_execz .LBB0_21
; %bb.20:
	v_mul_f64 v[48:49], v[42:43], v[108:109]
	v_mul_f64 v[50:51], v[38:39], v[112:113]
	;; [unrolled: 1-line block ×4, first 2 shown]
	v_fma_f64 v[48:49], v[40:41], v[110:111], -v[48:49]
	v_fma_f64 v[50:51], v[36:37], v[114:115], -v[50:51]
	v_fma_f64 v[40:41], v[40:41], v[108:109], v[42:43]
	v_fma_f64 v[36:37], v[36:37], v[112:113], v[38:39]
	v_add_f64 v[54:55], v[106:107], v[48:49]
	v_add_f64 v[38:39], v[48:49], v[50:51]
	v_add_f64 v[62:63], v[48:49], -v[50:51]
	v_add_f64 v[42:43], v[40:41], v[36:37]
	v_add_f64 v[52:53], v[40:41], -v[36:37]
	v_add_f64 v[40:41], v[104:105], v[40:41]
	v_fma_f64 v[60:61], v[38:39], -0.5, v[106:107]
	v_add_f64 v[38:39], v[54:55], v[50:51]
	v_fma_f64 v[64:65], v[42:43], -0.5, v[104:105]
	v_add_f64 v[36:37], v[40:41], v[36:37]
	v_fma_f64 v[50:51], v[52:53], s[2:3], v[60:61]
	v_fma_f64 v[42:43], v[52:53], s[0:1], v[60:61]
	;; [unrolled: 1-line block ×4, first 2 shown]
	v_lshl_add_u32 v52, v163, 4, v158
	ds_write_b128 v52, v[36:39] offset:1296
	ds_write_b128 v52, v[48:51] offset:1344
	;; [unrolled: 1-line block ×3, first 2 shown]
.LBB0_21:
	s_or_b32 exec_lo, exec_lo, s4
	s_waitcnt lgkmcnt(0)
	s_barrier
	buffer_gl0_inv
	ds_read_b128 v[36:39], v157 offset:432
	ds_read_b128 v[40:43], v157 offset:720
	;; [unrolled: 1-line block ×9, first 2 shown]
	ds_read_b128 v[108:111], v157
	s_mov_b32 s4, 0x134454ff
	s_mov_b32 s5, 0xbfee6f0e
	;; [unrolled: 1-line block ×10, first 2 shown]
	s_waitcnt lgkmcnt(9)
	v_mul_f64 v[112:113], v[58:59], v[36:37]
	s_waitcnt lgkmcnt(8)
	v_mul_f64 v[114:115], v[82:83], v[40:41]
	;; [unrolled: 2-line block ×5, first 2 shown]
	v_mul_f64 v[58:59], v[58:59], v[38:39]
	v_mul_f64 v[82:83], v[82:83], v[42:43]
	;; [unrolled: 1-line block ×4, first 2 shown]
	s_waitcnt lgkmcnt(4)
	v_mul_f64 v[122:123], v[102:103], v[66:67]
	v_mul_f64 v[102:103], v[102:103], v[64:65]
	s_waitcnt lgkmcnt(3)
	v_mul_f64 v[124:125], v[98:99], v[70:71]
	v_mul_f64 v[98:99], v[98:99], v[68:69]
	s_waitcnt lgkmcnt(2)
	v_mul_f64 v[126:127], v[94:95], v[74:75]
	s_waitcnt lgkmcnt(1)
	v_mul_f64 v[128:129], v[90:91], v[104:105]
	v_mul_f64 v[94:95], v[94:95], v[72:73]
	v_mul_f64 v[90:91], v[90:91], v[106:107]
	v_mul_f64 v[46:47], v[46:47], v[62:63]
	s_mov_b32 s16, 0x9b97f4a8
	s_mov_b32 s17, 0x3fe9e377
	;; [unrolled: 1-line block ×4, first 2 shown]
	v_fma_f64 v[38:39], v[56:57], v[38:39], -v[112:113]
	v_fma_f64 v[42:43], v[80:81], v[42:43], -v[114:115]
	;; [unrolled: 1-line block ×5, first 2 shown]
	v_fma_f64 v[36:37], v[56:57], v[36:37], v[58:59]
	v_fma_f64 v[40:41], v[80:81], v[40:41], v[82:83]
	;; [unrolled: 1-line block ×5, first 2 shown]
	v_fma_f64 v[66:67], v[100:101], v[66:67], -v[102:103]
	v_fma_f64 v[56:57], v[96:97], v[68:69], v[124:125]
	v_fma_f64 v[58:59], v[96:97], v[70:71], -v[98:99]
	v_fma_f64 v[68:69], v[92:93], v[72:73], v[126:127]
	v_fma_f64 v[70:71], v[88:89], v[106:107], -v[128:129]
	v_fma_f64 v[72:73], v[92:93], v[74:75], -v[94:95]
	v_fma_f64 v[74:75], v[88:89], v[104:105], v[90:91]
	v_fma_f64 v[44:45], v[44:45], v[60:61], v[46:47]
	s_mov_b32 s21, 0xbfe9e377
	s_mov_b32 s20, s16
	v_add_f64 v[120:121], v[38:39], -v[42:43]
	v_add_f64 v[76:77], v[42:43], v[50:51]
	v_add_f64 v[78:79], v[38:39], v[54:55]
	v_add_f64 v[118:119], v[38:39], -v[54:55]
	v_add_f64 v[122:123], v[54:55], -v[50:51]
	;; [unrolled: 1-line block ×3, first 2 shown]
	v_add_f64 v[88:89], v[40:41], v[48:49]
	v_add_f64 v[90:91], v[36:37], v[52:53]
	v_add_f64 v[92:93], v[36:37], -v[52:53]
	v_add_f64 v[94:95], v[40:41], -v[48:49]
	s_waitcnt lgkmcnt(0)
	v_add_f64 v[46:47], v[108:109], v[64:65]
	v_add_f64 v[84:85], v[64:65], -v[56:57]
	v_add_f64 v[60:61], v[56:57], v[68:69]
	v_add_f64 v[116:117], v[66:67], v[70:71]
	;; [unrolled: 1-line block ×3, first 2 shown]
	v_add_f64 v[86:87], v[74:75], -v[68:69]
	v_add_f64 v[96:97], v[64:65], v[74:75]
	v_add_f64 v[124:125], v[42:43], -v[38:39]
	v_add_f64 v[126:127], v[50:51], -v[54:55]
	v_add_f64 v[102:103], v[110:111], v[66:67]
	v_add_f64 v[38:39], v[62:63], v[38:39]
	v_add_f64 v[80:81], v[66:67], -v[70:71]
	v_add_f64 v[82:83], v[58:59], -v[72:73]
	v_fma_f64 v[76:77], v[76:77], -0.5, v[62:63]
	v_fma_f64 v[78:79], v[78:79], -0.5, v[62:63]
	v_add_f64 v[98:99], v[56:57], -v[64:65]
	v_add_f64 v[100:101], v[68:69], -v[74:75]
	;; [unrolled: 1-line block ×3, first 2 shown]
	v_fma_f64 v[88:89], v[88:89], -0.5, v[44:45]
	v_fma_f64 v[90:91], v[90:91], -0.5, v[44:45]
	v_add_f64 v[44:45], v[44:45], v[36:37]
	v_add_f64 v[106:107], v[56:57], -v[68:69]
	v_add_f64 v[136:137], v[36:37], -v[40:41]
	;; [unrolled: 1-line block ×3, first 2 shown]
	v_fma_f64 v[60:61], v[60:61], -0.5, v[108:109]
	v_add_f64 v[46:47], v[46:47], v[56:57]
	v_add_f64 v[36:37], v[40:41], -v[36:37]
	v_add_f64 v[62:63], v[84:85], v[86:87]
	v_fma_f64 v[56:57], v[96:97], -0.5, v[108:109]
	v_fma_f64 v[84:85], v[104:105], -0.5, v[110:111]
	;; [unrolled: 1-line block ×3, first 2 shown]
	v_add_f64 v[96:97], v[120:121], v[122:123]
	v_add_f64 v[140:141], v[48:49], -v[52:53]
	v_add_f64 v[104:105], v[124:125], v[126:127]
	v_add_f64 v[112:113], v[66:67], -v[58:59]
	v_fma_f64 v[132:133], v[92:93], s[2:3], v[76:77]
	v_fma_f64 v[134:135], v[94:95], s[4:5], v[78:79]
	;; [unrolled: 1-line block ×4, first 2 shown]
	v_add_f64 v[66:67], v[58:59], -v[66:67]
	v_fma_f64 v[108:109], v[118:119], s[4:5], v[88:89]
	v_fma_f64 v[110:111], v[128:129], s[2:3], v[90:91]
	;; [unrolled: 1-line block ×4, first 2 shown]
	v_add_f64 v[58:59], v[102:103], v[58:59]
	v_add_f64 v[40:41], v[44:45], v[40:41]
	;; [unrolled: 1-line block ×3, first 2 shown]
	v_add_f64 v[114:115], v[70:71], -v[72:73]
	v_add_f64 v[44:45], v[136:137], v[138:139]
	v_fma_f64 v[42:43], v[80:81], s[4:5], v[60:61]
	v_fma_f64 v[60:61], v[80:81], s[2:3], v[60:61]
	v_add_f64 v[130:131], v[72:73], -v[70:71]
	v_add_f64 v[46:47], v[46:47], v[68:69]
	v_add_f64 v[36:37], v[36:37], v[140:141]
	v_fma_f64 v[116:117], v[94:95], s[14:15], v[132:133]
	v_fma_f64 v[120:121], v[92:93], s[14:15], v[134:135]
	;; [unrolled: 1-line block ×4, first 2 shown]
	v_add_f64 v[92:93], v[98:99], v[100:101]
	v_fma_f64 v[94:95], v[82:83], s[2:3], v[56:57]
	v_fma_f64 v[56:57], v[82:83], s[4:5], v[56:57]
	;; [unrolled: 1-line block ×10, first 2 shown]
	v_add_f64 v[58:59], v[58:59], v[72:73]
	v_add_f64 v[40:41], v[40:41], v[48:49]
	;; [unrolled: 1-line block ×3, first 2 shown]
	v_fma_f64 v[42:43], v[82:83], s[12:13], v[42:43]
	v_fma_f64 v[48:49], v[82:83], s[14:15], v[60:61]
	v_add_f64 v[66:67], v[66:67], v[130:131]
	v_add_f64 v[46:47], v[46:47], v[74:75]
	v_fma_f64 v[110:111], v[96:97], s[0:1], v[116:117]
	v_fma_f64 v[116:117], v[104:105], s[0:1], v[120:121]
	;; [unrolled: 1-line block ×4, first 2 shown]
	v_add_f64 v[96:97], v[112:113], v[114:115]
	v_fma_f64 v[50:51], v[80:81], s[12:13], v[94:95]
	v_fma_f64 v[56:57], v[80:81], s[14:15], v[56:57]
	;; [unrolled: 1-line block ×10, first 2 shown]
	v_add_f64 v[58:59], v[58:59], v[70:71]
	v_add_f64 v[40:41], v[40:41], v[52:53]
	;; [unrolled: 1-line block ×3, first 2 shown]
	v_fma_f64 v[70:71], v[62:63], s[0:1], v[42:43]
	v_fma_f64 v[62:63], v[62:63], s[0:1], v[48:49]
	v_mul_f64 v[84:85], v[110:111], s[12:13]
	v_mul_f64 v[94:95], v[110:111], s[16:17]
	;; [unrolled: 1-line block ×8, first 2 shown]
	v_fma_f64 v[100:101], v[96:97], s[0:1], v[60:61]
	v_fma_f64 v[74:75], v[92:93], s[0:1], v[50:51]
	;; [unrolled: 1-line block ×6, first 2 shown]
	s_mul_i32 s4, s8, 30
	v_add_f64 v[38:39], v[58:59], v[52:53]
	v_add_f64 v[42:43], v[58:59], -v[52:53]
	v_fma_f64 v[60:61], v[80:81], s[16:17], v[84:85]
	v_fma_f64 v[80:81], v[80:81], s[14:15], v[94:95]
	;; [unrolled: 1-line block ×8, first 2 shown]
	v_add_f64 v[36:37], v[46:47], v[40:41]
	v_add_f64 v[40:41], v[46:47], -v[40:41]
	s_mul_hi_u32 s1, s8, 30
	s_mov_b32 s2, 0x16c16c17
	s_mov_b32 s3, 0x3f86c16c
	v_add_f64 v[44:45], v[70:71], v[60:61]
	v_add_f64 v[46:47], v[100:101], v[80:81]
	;; [unrolled: 1-line block ×8, first 2 shown]
	v_add_f64 v[60:61], v[70:71], -v[60:61]
	v_add_f64 v[72:73], v[62:63], -v[72:73]
	;; [unrolled: 1-line block ×8, first 2 shown]
	v_mad_u64_u32 v[76:77], null, s10, v152, 0
	ds_write_b128 v157, v[36:39]
	ds_write_b128 v157, v[40:43] offset:720
	ds_write_b128 v157, v[44:47] offset:144
	;; [unrolled: 1-line block ×9, first 2 shown]
	s_waitcnt lgkmcnt(0)
	s_barrier
	buffer_gl0_inv
	ds_read_b128 v[36:39], v157
	ds_read_b128 v[40:43], v157 offset:480
	ds_read_b128 v[44:47], v157 offset:960
	ds_read_b128 v[48:51], v157 offset:144
	v_mad_u64_u32 v[78:79], null, s8, v155, 0
                                        ; kill: def $vgpr80 killed $sgpr0 killed $exec
	s_mul_i32 s0, s9, 30
	s_mul_hi_u32 s10, s8, 0xffffffcd
	s_add_i32 s5, s1, s0
	s_sub_i32 s1, s10, s8
	s_lshl_b64 s[4:5], s[4:5], 4
	v_mad_u64_u32 v[52:53], null, s11, v152, v[77:78]
	v_mad_u64_u32 v[53:54], null, s9, v155, v[79:80]
	v_mov_b32_e32 v77, v52
	s_waitcnt lgkmcnt(3)
	v_mul_f64 v[68:69], v[26:27], v[38:39]
	v_mul_f64 v[26:27], v[26:27], v[36:37]
	s_waitcnt lgkmcnt(2)
	v_mul_f64 v[70:71], v[30:31], v[42:43]
	v_mul_f64 v[30:31], v[30:31], v[40:41]
	;; [unrolled: 3-line block ×3, first 2 shown]
	s_waitcnt lgkmcnt(0)
	v_mul_f64 v[74:75], v[22:23], v[50:51]
	v_mov_b32_e32 v79, v53
	ds_read_b128 v[52:55], v157 offset:624
	ds_read_b128 v[56:59], v157 offset:1104
	;; [unrolled: 1-line block ×3, first 2 shown]
	v_lshlrev_b64 v[64:65], 4, v[76:77]
	v_lshlrev_b64 v[66:67], 4, v[78:79]
	v_mul_f64 v[78:79], v[22:23], v[48:49]
	v_add_co_u32 v82, s0, s6, v64
	v_add_co_ci_u32_e64 v83, s0, s7, v65, s0
	v_add_co_u32 v76, s0, v82, v66
	v_fma_f64 v[36:37], v[24:25], v[36:37], v[68:69]
	v_fma_f64 v[26:27], v[24:25], v[38:39], -v[26:27]
	v_fma_f64 v[38:39], v[28:29], v[40:41], v[70:71]
	v_fma_f64 v[28:29], v[28:29], v[42:43], -v[30:31]
	s_waitcnt lgkmcnt(2)
	v_mul_f64 v[80:81], v[18:19], v[54:55]
	v_fma_f64 v[30:31], v[32:33], v[44:45], v[72:73]
	v_fma_f64 v[32:33], v[32:33], v[46:47], -v[34:35]
	v_fma_f64 v[34:35], v[20:21], v[48:49], v[74:75]
	v_mul_f64 v[18:19], v[18:19], v[52:53]
	v_add_co_ci_u32_e64 v77, s0, v83, v67, s0
	ds_read_b128 v[64:67], v157 offset:768
	ds_read_b128 v[22:25], v157 offset:1248
	s_waitcnt lgkmcnt(3)
	v_mul_f64 v[44:45], v[14:15], v[58:59]
	v_mul_f64 v[46:47], v[14:15], v[56:57]
	v_fma_f64 v[48:49], v[20:21], v[50:51], -v[78:79]
	s_waitcnt lgkmcnt(2)
	v_mul_f64 v[50:51], v[10:11], v[62:63]
	v_mul_f64 v[68:69], v[10:11], v[60:61]
	v_add_co_u32 v40, s0, v76, s4
	v_add_co_ci_u32_e64 v41, s0, s5, v77, s0
	v_mul_f64 v[14:15], v[36:37], s[2:3]
	v_add_co_u32 v42, s0, v40, s4
	v_add_co_ci_u32_e64 v43, s0, s5, v41, s0
	v_fma_f64 v[52:53], v[16:17], v[52:53], v[80:81]
	s_mul_i32 s0, s9, 0xffffffcd
	v_mul_f64 v[10:11], v[34:35], s[2:3]
	v_fma_f64 v[54:55], v[16:17], v[54:55], -v[18:19]
	s_waitcnt lgkmcnt(1)
	v_mul_f64 v[34:35], v[2:3], v[66:67]
	v_mul_f64 v[2:3], v[2:3], v[64:65]
	s_waitcnt lgkmcnt(0)
	v_mul_f64 v[36:37], v[6:7], v[24:25]
	v_mul_f64 v[6:7], v[6:7], v[22:23]
	;; [unrolled: 1-line block ×3, first 2 shown]
	v_fma_f64 v[38:39], v[12:13], v[56:57], v[44:45]
	v_fma_f64 v[44:45], v[12:13], v[58:59], -v[46:47]
	s_add_i32 s1, s1, s0
	s_mul_i32 s0, s8, 0xffffffcd
	v_fma_f64 v[46:47], v[8:9], v[60:61], v[50:51]
	s_lshl_b64 s[6:7], s[0:1], 4
	v_mul_f64 v[12:13], v[48:49], s[2:3]
	v_add_co_u32 v48, s0, v42, s6
	v_fma_f64 v[8:9], v[8:9], v[62:63], -v[68:69]
	v_mul_f64 v[16:17], v[26:27], s[2:3]
	v_mul_f64 v[26:27], v[30:31], s[2:3]
	v_mul_f64 v[20:21], v[28:29], s[2:3]
	v_mul_f64 v[30:31], v[52:53], s[2:3]
	v_mul_f64 v[28:29], v[32:33], s[2:3]
	v_add_co_ci_u32_e64 v49, s0, s7, v43, s0
	v_fma_f64 v[34:35], v[0:1], v[64:65], v[34:35]
	v_fma_f64 v[52:53], v[0:1], v[66:67], -v[2:3]
	v_mul_f64 v[32:33], v[54:55], s[2:3]
	v_fma_f64 v[36:37], v[4:5], v[22:23], v[36:37]
	v_fma_f64 v[54:55], v[4:5], v[24:25], -v[6:7]
	v_add_co_u32 v50, s0, v48, s4
	v_mad_u64_u32 v[56:57], null, s8, v156, 0
	v_add_co_ci_u32_e64 v51, s0, s5, v49, s0
	v_mul_f64 v[2:3], v[38:39], s[2:3]
	v_add_co_u32 v38, s0, v50, s4
	v_add_co_ci_u32_e64 v39, s0, s5, v51, s0
	v_mov_b32_e32 v0, v57
	v_mul_f64 v[4:5], v[44:45], s[2:3]
	v_add_co_u32 v44, s0, v38, s6
	v_add_co_ci_u32_e64 v45, s0, s7, v39, s0
	v_mul_f64 v[6:7], v[46:47], s[2:3]
	v_mad_u64_u32 v[46:47], null, s9, v156, v[0:1]
	v_mul_f64 v[8:9], v[8:9], s[2:3]
	v_mad_u64_u32 v[0:1], null, 0x3c0, s8, v[44:45]
	v_mul_f64 v[22:23], v[34:35], s[2:3]
	v_mul_f64 v[24:25], v[52:53], s[2:3]
	;; [unrolled: 1-line block ×4, first 2 shown]
	v_mov_b32_e32 v57, v46
	global_store_dwordx4 v[76:77], v[14:17], off
	global_store_dwordx4 v[40:41], v[18:21], off
	;; [unrolled: 1-line block ×3, first 2 shown]
	v_mad_u64_u32 v[16:17], null, 0x3c0, s9, v[1:2]
	global_store_dwordx4 v[48:49], v[10:13], off
	global_store_dwordx4 v[50:51], v[30:33], off
	v_lshlrev_b64 v[14:15], 4, v[56:57]
	v_mov_b32_e32 v1, v16
	v_add_co_u32 v10, s0, v82, v14
	v_add_co_ci_u32_e64 v11, s0, v83, v15, s0
	global_store_dwordx4 v[38:39], v[2:5], off
	global_store_dwordx4 v[44:45], v[6:9], off
	;; [unrolled: 1-line block ×4, first 2 shown]
	s_and_b32 exec_lo, exec_lo, vcc_lo
	s_cbranch_execz .LBB0_23
; %bb.22:
	s_clause 0x2
	global_load_dwordx4 v[2:5], v[153:154], off offset:432
	global_load_dwordx4 v[6:9], v[153:154], off offset:912
	;; [unrolled: 1-line block ×3, first 2 shown]
	ds_read_b128 v[14:17], v157 offset:432
	ds_read_b128 v[18:21], v157 offset:912
	;; [unrolled: 1-line block ×3, first 2 shown]
	v_add_co_u32 v0, vcc_lo, v0, s6
	v_add_co_ci_u32_e32 v1, vcc_lo, s7, v1, vcc_lo
	s_waitcnt vmcnt(2) lgkmcnt(2)
	v_mul_f64 v[26:27], v[16:17], v[4:5]
	v_mul_f64 v[4:5], v[14:15], v[4:5]
	s_waitcnt vmcnt(1) lgkmcnt(1)
	v_mul_f64 v[28:29], v[20:21], v[8:9]
	v_mul_f64 v[8:9], v[18:19], v[8:9]
	;; [unrolled: 3-line block ×3, first 2 shown]
	v_fma_f64 v[14:15], v[14:15], v[2:3], v[26:27]
	v_fma_f64 v[4:5], v[2:3], v[16:17], -v[4:5]
	v_fma_f64 v[16:17], v[18:19], v[6:7], v[28:29]
	v_fma_f64 v[8:9], v[6:7], v[20:21], -v[8:9]
	;; [unrolled: 2-line block ×3, first 2 shown]
	v_mul_f64 v[2:3], v[14:15], s[2:3]
	v_mul_f64 v[4:5], v[4:5], s[2:3]
	;; [unrolled: 1-line block ×6, first 2 shown]
	v_add_co_u32 v14, vcc_lo, v0, s4
	v_add_co_ci_u32_e32 v15, vcc_lo, s5, v1, vcc_lo
	v_add_co_u32 v16, vcc_lo, v14, s4
	v_add_co_ci_u32_e32 v17, vcc_lo, s5, v15, vcc_lo
	global_store_dwordx4 v[0:1], v[2:5], off
	global_store_dwordx4 v[14:15], v[6:9], off
	;; [unrolled: 1-line block ×3, first 2 shown]
.LBB0_23:
	s_endpgm
	.section	.rodata,"a",@progbits
	.p2align	6, 0x0
	.amdhsa_kernel bluestein_single_back_len90_dim1_dp_op_CI_CI
		.amdhsa_group_segment_fixed_size 10080
		.amdhsa_private_segment_fixed_size 0
		.amdhsa_kernarg_size 104
		.amdhsa_user_sgpr_count 6
		.amdhsa_user_sgpr_private_segment_buffer 1
		.amdhsa_user_sgpr_dispatch_ptr 0
		.amdhsa_user_sgpr_queue_ptr 0
		.amdhsa_user_sgpr_kernarg_segment_ptr 1
		.amdhsa_user_sgpr_dispatch_id 0
		.amdhsa_user_sgpr_flat_scratch_init 0
		.amdhsa_user_sgpr_private_segment_size 0
		.amdhsa_wavefront_size32 1
		.amdhsa_uses_dynamic_stack 0
		.amdhsa_system_sgpr_private_segment_wavefront_offset 0
		.amdhsa_system_sgpr_workgroup_id_x 1
		.amdhsa_system_sgpr_workgroup_id_y 0
		.amdhsa_system_sgpr_workgroup_id_z 0
		.amdhsa_system_sgpr_workgroup_info 0
		.amdhsa_system_vgpr_workitem_id 0
		.amdhsa_next_free_vgpr 239
		.amdhsa_next_free_sgpr 22
		.amdhsa_reserve_vcc 1
		.amdhsa_reserve_flat_scratch 0
		.amdhsa_float_round_mode_32 0
		.amdhsa_float_round_mode_16_64 0
		.amdhsa_float_denorm_mode_32 3
		.amdhsa_float_denorm_mode_16_64 3
		.amdhsa_dx10_clamp 1
		.amdhsa_ieee_mode 1
		.amdhsa_fp16_overflow 0
		.amdhsa_workgroup_processor_mode 1
		.amdhsa_memory_ordered 1
		.amdhsa_forward_progress 0
		.amdhsa_shared_vgpr_count 0
		.amdhsa_exception_fp_ieee_invalid_op 0
		.amdhsa_exception_fp_denorm_src 0
		.amdhsa_exception_fp_ieee_div_zero 0
		.amdhsa_exception_fp_ieee_overflow 0
		.amdhsa_exception_fp_ieee_underflow 0
		.amdhsa_exception_fp_ieee_inexact 0
		.amdhsa_exception_int_div_zero 0
	.end_amdhsa_kernel
	.text
.Lfunc_end0:
	.size	bluestein_single_back_len90_dim1_dp_op_CI_CI, .Lfunc_end0-bluestein_single_back_len90_dim1_dp_op_CI_CI
                                        ; -- End function
	.section	.AMDGPU.csdata,"",@progbits
; Kernel info:
; codeLenInByte = 10936
; NumSgprs: 24
; NumVgprs: 239
; ScratchSize: 0
; MemoryBound: 0
; FloatMode: 240
; IeeeMode: 1
; LDSByteSize: 10080 bytes/workgroup (compile time only)
; SGPRBlocks: 2
; VGPRBlocks: 29
; NumSGPRsForWavesPerEU: 24
; NumVGPRsForWavesPerEU: 239
; Occupancy: 4
; WaveLimiterHint : 1
; COMPUTE_PGM_RSRC2:SCRATCH_EN: 0
; COMPUTE_PGM_RSRC2:USER_SGPR: 6
; COMPUTE_PGM_RSRC2:TRAP_HANDLER: 0
; COMPUTE_PGM_RSRC2:TGID_X_EN: 1
; COMPUTE_PGM_RSRC2:TGID_Y_EN: 0
; COMPUTE_PGM_RSRC2:TGID_Z_EN: 0
; COMPUTE_PGM_RSRC2:TIDIG_COMP_CNT: 0
	.text
	.p2alignl 6, 3214868480
	.fill 48, 4, 3214868480
	.type	__hip_cuid_1da27143c800591c,@object ; @__hip_cuid_1da27143c800591c
	.section	.bss,"aw",@nobits
	.globl	__hip_cuid_1da27143c800591c
__hip_cuid_1da27143c800591c:
	.byte	0                               ; 0x0
	.size	__hip_cuid_1da27143c800591c, 1

	.ident	"AMD clang version 19.0.0git (https://github.com/RadeonOpenCompute/llvm-project roc-6.4.0 25133 c7fe45cf4b819c5991fe208aaa96edf142730f1d)"
	.section	".note.GNU-stack","",@progbits
	.addrsig
	.addrsig_sym __hip_cuid_1da27143c800591c
	.amdgpu_metadata
---
amdhsa.kernels:
  - .args:
      - .actual_access:  read_only
        .address_space:  global
        .offset:         0
        .size:           8
        .value_kind:     global_buffer
      - .actual_access:  read_only
        .address_space:  global
        .offset:         8
        .size:           8
        .value_kind:     global_buffer
      - .actual_access:  read_only
        .address_space:  global
        .offset:         16
        .size:           8
        .value_kind:     global_buffer
      - .actual_access:  read_only
        .address_space:  global
        .offset:         24
        .size:           8
        .value_kind:     global_buffer
      - .actual_access:  read_only
        .address_space:  global
        .offset:         32
        .size:           8
        .value_kind:     global_buffer
      - .offset:         40
        .size:           8
        .value_kind:     by_value
      - .address_space:  global
        .offset:         48
        .size:           8
        .value_kind:     global_buffer
      - .address_space:  global
        .offset:         56
        .size:           8
        .value_kind:     global_buffer
      - .address_space:  global
        .offset:         64
        .size:           8
        .value_kind:     global_buffer
      - .address_space:  global
        .offset:         72
        .size:           8
        .value_kind:     global_buffer
      - .offset:         80
        .size:           4
        .value_kind:     by_value
      - .address_space:  global
        .offset:         88
        .size:           8
        .value_kind:     global_buffer
      - .address_space:  global
        .offset:         96
        .size:           8
        .value_kind:     global_buffer
    .group_segment_fixed_size: 10080
    .kernarg_segment_align: 8
    .kernarg_segment_size: 104
    .language:       OpenCL C
    .language_version:
      - 2
      - 0
    .max_flat_workgroup_size: 63
    .name:           bluestein_single_back_len90_dim1_dp_op_CI_CI
    .private_segment_fixed_size: 0
    .sgpr_count:     24
    .sgpr_spill_count: 0
    .symbol:         bluestein_single_back_len90_dim1_dp_op_CI_CI.kd
    .uniform_work_group_size: 1
    .uses_dynamic_stack: false
    .vgpr_count:     239
    .vgpr_spill_count: 0
    .wavefront_size: 32
    .workgroup_processor_mode: 1
amdhsa.target:   amdgcn-amd-amdhsa--gfx1030
amdhsa.version:
  - 1
  - 2
...

	.end_amdgpu_metadata
